;; amdgpu-corpus repo=ROCm/rocFFT kind=compiled arch=gfx906 opt=O3
	.text
	.amdgcn_target "amdgcn-amd-amdhsa--gfx906"
	.amdhsa_code_object_version 6
	.protected	fft_rtc_fwd_len396_factors_11_9_4_wgs_44_tpt_44_dp_op_CI_CI_unitstride_sbrr_R2C_dirReg ; -- Begin function fft_rtc_fwd_len396_factors_11_9_4_wgs_44_tpt_44_dp_op_CI_CI_unitstride_sbrr_R2C_dirReg
	.globl	fft_rtc_fwd_len396_factors_11_9_4_wgs_44_tpt_44_dp_op_CI_CI_unitstride_sbrr_R2C_dirReg
	.p2align	8
	.type	fft_rtc_fwd_len396_factors_11_9_4_wgs_44_tpt_44_dp_op_CI_CI_unitstride_sbrr_R2C_dirReg,@function
fft_rtc_fwd_len396_factors_11_9_4_wgs_44_tpt_44_dp_op_CI_CI_unitstride_sbrr_R2C_dirReg: ; @fft_rtc_fwd_len396_factors_11_9_4_wgs_44_tpt_44_dp_op_CI_CI_unitstride_sbrr_R2C_dirReg
; %bb.0:
	s_load_dwordx4 s[8:11], s[4:5], 0x58
	s_load_dwordx4 s[12:15], s[4:5], 0x0
	;; [unrolled: 1-line block ×3, first 2 shown]
	v_mul_u32_u24_e32 v1, 0x5d2, v0
	v_add_u32_sdwa v5, s6, v1 dst_sel:DWORD dst_unused:UNUSED_PAD src0_sel:DWORD src1_sel:WORD_1
	v_mov_b32_e32 v3, 0
	s_waitcnt lgkmcnt(0)
	v_cmp_lt_u64_e64 s[0:1], s[14:15], 2
	v_mov_b32_e32 v1, 0
	v_mov_b32_e32 v6, v3
	s_and_b64 vcc, exec, s[0:1]
	v_mov_b32_e32 v2, 0
	s_cbranch_vccnz .LBB0_8
; %bb.1:
	s_load_dwordx2 s[0:1], s[4:5], 0x10
	s_add_u32 s2, s18, 8
	s_addc_u32 s3, s19, 0
	s_add_u32 s6, s16, 8
	v_mov_b32_e32 v1, 0
	s_addc_u32 s7, s17, 0
	v_mov_b32_e32 v2, 0
	s_waitcnt lgkmcnt(0)
	s_add_u32 s20, s0, 8
	v_mov_b32_e32 v53, v2
	s_addc_u32 s21, s1, 0
	s_mov_b64 s[22:23], 1
	v_mov_b32_e32 v52, v1
.LBB0_2:                                ; =>This Inner Loop Header: Depth=1
	s_load_dwordx2 s[24:25], s[20:21], 0x0
                                        ; implicit-def: $vgpr54_vgpr55
	s_waitcnt lgkmcnt(0)
	v_or_b32_e32 v4, s25, v6
	v_cmp_ne_u64_e32 vcc, 0, v[3:4]
	s_and_saveexec_b64 s[0:1], vcc
	s_xor_b64 s[26:27], exec, s[0:1]
	s_cbranch_execz .LBB0_4
; %bb.3:                                ;   in Loop: Header=BB0_2 Depth=1
	v_cvt_f32_u32_e32 v4, s24
	v_cvt_f32_u32_e32 v7, s25
	s_sub_u32 s0, 0, s24
	s_subb_u32 s1, 0, s25
	v_mac_f32_e32 v4, 0x4f800000, v7
	v_rcp_f32_e32 v4, v4
	v_mul_f32_e32 v4, 0x5f7ffffc, v4
	v_mul_f32_e32 v7, 0x2f800000, v4
	v_trunc_f32_e32 v7, v7
	v_mac_f32_e32 v4, 0xcf800000, v7
	v_cvt_u32_f32_e32 v7, v7
	v_cvt_u32_f32_e32 v4, v4
	v_mul_lo_u32 v8, s0, v7
	v_mul_hi_u32 v9, s0, v4
	v_mul_lo_u32 v11, s1, v4
	v_mul_lo_u32 v10, s0, v4
	v_add_u32_e32 v8, v9, v8
	v_add_u32_e32 v8, v8, v11
	v_mul_hi_u32 v9, v4, v10
	v_mul_lo_u32 v11, v4, v8
	v_mul_hi_u32 v13, v4, v8
	v_mul_hi_u32 v12, v7, v10
	v_mul_lo_u32 v10, v7, v10
	v_mul_hi_u32 v14, v7, v8
	v_add_co_u32_e32 v9, vcc, v9, v11
	v_addc_co_u32_e32 v11, vcc, 0, v13, vcc
	v_mul_lo_u32 v8, v7, v8
	v_add_co_u32_e32 v9, vcc, v9, v10
	v_addc_co_u32_e32 v9, vcc, v11, v12, vcc
	v_addc_co_u32_e32 v10, vcc, 0, v14, vcc
	v_add_co_u32_e32 v8, vcc, v9, v8
	v_addc_co_u32_e32 v9, vcc, 0, v10, vcc
	v_add_co_u32_e32 v4, vcc, v4, v8
	v_addc_co_u32_e32 v7, vcc, v7, v9, vcc
	v_mul_lo_u32 v8, s0, v7
	v_mul_hi_u32 v9, s0, v4
	v_mul_lo_u32 v10, s1, v4
	v_mul_lo_u32 v11, s0, v4
	v_add_u32_e32 v8, v9, v8
	v_add_u32_e32 v8, v8, v10
	v_mul_lo_u32 v12, v4, v8
	v_mul_hi_u32 v13, v4, v11
	v_mul_hi_u32 v14, v4, v8
	v_mul_hi_u32 v10, v7, v11
	v_mul_lo_u32 v11, v7, v11
	v_mul_hi_u32 v9, v7, v8
	v_add_co_u32_e32 v12, vcc, v13, v12
	v_addc_co_u32_e32 v13, vcc, 0, v14, vcc
	v_mul_lo_u32 v8, v7, v8
	v_add_co_u32_e32 v11, vcc, v12, v11
	v_addc_co_u32_e32 v10, vcc, v13, v10, vcc
	v_addc_co_u32_e32 v9, vcc, 0, v9, vcc
	v_add_co_u32_e32 v8, vcc, v10, v8
	v_addc_co_u32_e32 v9, vcc, 0, v9, vcc
	v_add_co_u32_e32 v4, vcc, v4, v8
	v_addc_co_u32_e32 v9, vcc, v7, v9, vcc
	v_mad_u64_u32 v[7:8], s[0:1], v5, v9, 0
	v_mul_hi_u32 v10, v5, v4
	v_add_co_u32_e32 v11, vcc, v10, v7
	v_addc_co_u32_e32 v12, vcc, 0, v8, vcc
	v_mad_u64_u32 v[7:8], s[0:1], v6, v4, 0
	v_mad_u64_u32 v[9:10], s[0:1], v6, v9, 0
	v_add_co_u32_e32 v4, vcc, v11, v7
	v_addc_co_u32_e32 v4, vcc, v12, v8, vcc
	v_addc_co_u32_e32 v7, vcc, 0, v10, vcc
	v_add_co_u32_e32 v4, vcc, v4, v9
	v_addc_co_u32_e32 v9, vcc, 0, v7, vcc
	v_mul_lo_u32 v10, s25, v4
	v_mul_lo_u32 v11, s24, v9
	v_mad_u64_u32 v[7:8], s[0:1], s24, v4, 0
	v_add3_u32 v8, v8, v11, v10
	v_sub_u32_e32 v10, v6, v8
	v_mov_b32_e32 v11, s25
	v_sub_co_u32_e32 v7, vcc, v5, v7
	v_subb_co_u32_e64 v10, s[0:1], v10, v11, vcc
	v_subrev_co_u32_e64 v11, s[0:1], s24, v7
	v_subbrev_co_u32_e64 v10, s[0:1], 0, v10, s[0:1]
	v_cmp_le_u32_e64 s[0:1], s25, v10
	v_cndmask_b32_e64 v12, 0, -1, s[0:1]
	v_cmp_le_u32_e64 s[0:1], s24, v11
	v_cndmask_b32_e64 v11, 0, -1, s[0:1]
	v_cmp_eq_u32_e64 s[0:1], s25, v10
	v_cndmask_b32_e64 v10, v12, v11, s[0:1]
	v_add_co_u32_e64 v11, s[0:1], 2, v4
	v_addc_co_u32_e64 v12, s[0:1], 0, v9, s[0:1]
	v_add_co_u32_e64 v13, s[0:1], 1, v4
	v_addc_co_u32_e64 v14, s[0:1], 0, v9, s[0:1]
	v_subb_co_u32_e32 v8, vcc, v6, v8, vcc
	v_cmp_ne_u32_e64 s[0:1], 0, v10
	v_cmp_le_u32_e32 vcc, s25, v8
	v_cndmask_b32_e64 v10, v14, v12, s[0:1]
	v_cndmask_b32_e64 v12, 0, -1, vcc
	v_cmp_le_u32_e32 vcc, s24, v7
	v_cndmask_b32_e64 v7, 0, -1, vcc
	v_cmp_eq_u32_e32 vcc, s25, v8
	v_cndmask_b32_e32 v7, v12, v7, vcc
	v_cmp_ne_u32_e32 vcc, 0, v7
	v_cndmask_b32_e64 v7, v13, v11, s[0:1]
	v_cndmask_b32_e32 v55, v9, v10, vcc
	v_cndmask_b32_e32 v54, v4, v7, vcc
.LBB0_4:                                ;   in Loop: Header=BB0_2 Depth=1
	s_andn2_saveexec_b64 s[0:1], s[26:27]
	s_cbranch_execz .LBB0_6
; %bb.5:                                ;   in Loop: Header=BB0_2 Depth=1
	v_cvt_f32_u32_e32 v4, s24
	s_sub_i32 s26, 0, s24
	v_mov_b32_e32 v55, v3
	v_rcp_iflag_f32_e32 v4, v4
	v_mul_f32_e32 v4, 0x4f7ffffe, v4
	v_cvt_u32_f32_e32 v4, v4
	v_mul_lo_u32 v7, s26, v4
	v_mul_hi_u32 v7, v4, v7
	v_add_u32_e32 v4, v4, v7
	v_mul_hi_u32 v4, v5, v4
	v_mul_lo_u32 v7, v4, s24
	v_add_u32_e32 v8, 1, v4
	v_sub_u32_e32 v7, v5, v7
	v_subrev_u32_e32 v9, s24, v7
	v_cmp_le_u32_e32 vcc, s24, v7
	v_cndmask_b32_e32 v7, v7, v9, vcc
	v_cndmask_b32_e32 v4, v4, v8, vcc
	v_add_u32_e32 v8, 1, v4
	v_cmp_le_u32_e32 vcc, s24, v7
	v_cndmask_b32_e32 v54, v4, v8, vcc
.LBB0_6:                                ;   in Loop: Header=BB0_2 Depth=1
	s_or_b64 exec, exec, s[0:1]
	v_mul_lo_u32 v4, v55, s24
	v_mul_lo_u32 v9, v54, s25
	v_mad_u64_u32 v[7:8], s[0:1], v54, s24, 0
	s_load_dwordx2 s[0:1], s[6:7], 0x0
	s_load_dwordx2 s[24:25], s[2:3], 0x0
	v_add3_u32 v4, v8, v9, v4
	v_sub_co_u32_e32 v5, vcc, v5, v7
	v_subb_co_u32_e32 v4, vcc, v6, v4, vcc
	s_waitcnt lgkmcnt(0)
	v_mul_lo_u32 v6, s0, v4
	v_mul_lo_u32 v7, s1, v5
	v_mad_u64_u32 v[1:2], s[0:1], s0, v5, v[1:2]
	v_mul_lo_u32 v4, s24, v4
	v_mul_lo_u32 v8, s25, v5
	v_mad_u64_u32 v[52:53], s[0:1], s24, v5, v[52:53]
	s_add_u32 s22, s22, 1
	s_addc_u32 s23, s23, 0
	s_add_u32 s2, s2, 8
	v_add3_u32 v53, v8, v53, v4
	s_addc_u32 s3, s3, 0
	v_mov_b32_e32 v4, s14
	s_add_u32 s6, s6, 8
	v_mov_b32_e32 v5, s15
	s_addc_u32 s7, s7, 0
	v_cmp_ge_u64_e32 vcc, s[22:23], v[4:5]
	s_add_u32 s20, s20, 8
	v_add3_u32 v2, v7, v2, v6
	s_addc_u32 s21, s21, 0
	s_cbranch_vccnz .LBB0_9
; %bb.7:                                ;   in Loop: Header=BB0_2 Depth=1
	v_mov_b32_e32 v5, v54
	v_mov_b32_e32 v6, v55
	s_branch .LBB0_2
.LBB0_8:
	v_mov_b32_e32 v53, v2
	v_mov_b32_e32 v55, v6
	;; [unrolled: 1-line block ×4, first 2 shown]
.LBB0_9:
	s_load_dwordx2 s[4:5], s[4:5], 0x28
	s_lshl_b64 s[6:7], s[14:15], 3
	s_add_u32 s2, s18, s6
	s_addc_u32 s3, s19, s7
                                        ; implicit-def: $vgpr56
	s_waitcnt lgkmcnt(0)
	v_cmp_gt_u64_e64 s[0:1], s[4:5], v[54:55]
	v_cmp_le_u64_e32 vcc, s[4:5], v[54:55]
	s_and_saveexec_b64 s[4:5], vcc
	s_xor_b64 s[4:5], exec, s[4:5]
; %bb.10:
	s_mov_b32 s14, 0x5d1745e
	v_mul_hi_u32 v1, v0, s14
	v_mul_u32_u24_e32 v1, 44, v1
	v_sub_u32_e32 v56, v0, v1
                                        ; implicit-def: $vgpr0
                                        ; implicit-def: $vgpr1_vgpr2
; %bb.11:
	s_andn2_saveexec_b64 s[4:5], s[4:5]
	s_cbranch_execz .LBB0_13
; %bb.12:
	s_add_u32 s6, s16, s6
	s_addc_u32 s7, s17, s7
	s_load_dwordx2 s[6:7], s[6:7], 0x0
	s_mov_b32 s14, 0x5d1745e
	v_mul_hi_u32 v5, v0, s14
	s_waitcnt lgkmcnt(0)
	v_mul_lo_u32 v6, s7, v54
	v_mul_lo_u32 v7, s6, v55
	v_mad_u64_u32 v[3:4], s[6:7], s6, v54, 0
	v_mul_u32_u24_e32 v5, 44, v5
	v_sub_u32_e32 v56, v0, v5
	v_add3_u32 v4, v4, v7, v6
	v_lshlrev_b64 v[3:4], 4, v[3:4]
	v_mov_b32_e32 v0, s9
	v_add_co_u32_e32 v3, vcc, s8, v3
	v_addc_co_u32_e32 v4, vcc, v0, v4, vcc
	v_lshlrev_b64 v[0:1], 4, v[1:2]
	v_lshlrev_b32_e32 v40, 4, v56
	v_add_co_u32_e32 v0, vcc, v3, v0
	v_addc_co_u32_e32 v1, vcc, v4, v1, vcc
	v_add_co_u32_e32 v36, vcc, v0, v40
	v_addc_co_u32_e32 v37, vcc, 0, v1, vcc
	v_add_co_u32_e32 v38, vcc, 0x1000, v36
	global_load_dwordx4 v[0:3], v[36:37], off
	global_load_dwordx4 v[4:7], v[36:37], off offset:704
	global_load_dwordx4 v[8:11], v[36:37], off offset:1408
	;; [unrolled: 1-line block ×3, first 2 shown]
	v_addc_co_u32_e32 v39, vcc, 0, v37, vcc
	global_load_dwordx4 v[16:19], v[36:37], off offset:2816
	global_load_dwordx4 v[20:23], v[36:37], off offset:3520
	;; [unrolled: 1-line block ×5, first 2 shown]
	v_add_u32_e32 v36, 0, v40
	s_waitcnt vmcnt(8)
	ds_write_b128 v36, v[0:3]
	s_waitcnt vmcnt(7)
	ds_write_b128 v36, v[4:7] offset:704
	s_waitcnt vmcnt(6)
	ds_write_b128 v36, v[8:11] offset:1408
	;; [unrolled: 2-line block ×8, first 2 shown]
.LBB0_13:
	s_or_b64 exec, exec, s[4:5]
	v_lshl_add_u32 v137, v56, 4, 0
	s_waitcnt lgkmcnt(0)
	; wave barrier
	s_waitcnt lgkmcnt(0)
	ds_read_b128 v[8:11], v137 offset:5760
	ds_read_b128 v[16:19], v137 offset:576
	;; [unrolled: 1-line block ×3, first 2 shown]
	ds_read_b128 v[24:27], v137
	ds_read_b128 v[32:35], v137 offset:1152
	s_mov_b32 s6, 0xf8bb580b
	s_waitcnt lgkmcnt(3)
	v_add_f64 v[93:94], v[18:19], -v[10:11]
	s_mov_b32 s7, 0xbfe14ced
	v_add_f64 v[67:68], v[16:17], v[8:9]
	s_waitcnt lgkmcnt(0)
	v_add_f64 v[91:92], v[34:35], -v[14:15]
	ds_read_b128 v[28:31], v137 offset:1728
	ds_read_b128 v[20:23], v137 offset:4608
	s_mov_b32 s4, 0x8764f0ba
	s_mov_b32 s22, 0x8eee2c13
	;; [unrolled: 1-line block ×3, first 2 shown]
	v_mul_f64 v[57:58], v[93:94], s[6:7]
	s_mov_b32 s23, 0xbfed1bb4
	v_add_f64 v[69:70], v[32:33], v[12:13]
	v_mul_f64 v[59:60], v[91:92], s[22:23]
	s_waitcnt lgkmcnt(0)
	v_add_f64 v[97:98], v[30:31], -v[22:23]
	s_mov_b32 s8, 0xd9c712b6
	s_mov_b32 s20, 0x43842ef
	;; [unrolled: 1-line block ×3, first 2 shown]
	v_fma_f64 v[0:1], v[67:68], s[4:5], v[57:58]
	s_mov_b32 s21, 0xbfefac9e
	v_add_f64 v[83:84], v[16:17], -v[8:9]
	v_fma_f64 v[2:3], v[69:70], s[8:9], v[59:60]
	v_add_f64 v[71:72], v[28:29], v[20:21]
	v_mul_f64 v[65:66], v[97:98], s[20:21]
	s_mov_b32 s14, 0x640f44db
	s_mov_b32 s15, 0xbfc2375f
	v_add_f64 v[0:1], v[24:25], v[0:1]
	v_add_f64 v[113:114], v[18:19], v[10:11]
	v_mul_f64 v[61:62], v[83:84], s[6:7]
	v_add_f64 v[85:86], v[32:33], -v[12:13]
	v_mul_f64 v[89:90], v[93:94], s[22:23]
	v_fma_f64 v[6:7], v[71:72], s[14:15], v[65:66]
	v_mul_f64 v[127:128], v[83:84], s[22:23]
	s_mov_b32 s18, 0xbb3a28a1
	v_add_f64 v[0:1], v[2:3], v[0:1]
	s_mov_b32 s19, 0xbfe82f19
	v_fma_f64 v[4:5], v[113:114], s[4:5], -v[61:62]
	v_add_f64 v[119:120], v[34:35], v[14:15]
	v_mul_f64 v[63:64], v[85:86], s[22:23]
	v_add_f64 v[75:76], v[28:29], -v[20:21]
	v_mul_f64 v[95:96], v[91:92], s[18:19]
	v_fma_f64 v[99:100], v[113:114], s[8:9], -v[127:128]
	v_add_f64 v[0:1], v[6:7], v[0:1]
	v_fma_f64 v[6:7], v[67:68], s[8:9], v[89:90]
	v_mul_f64 v[111:112], v[85:86], s[18:19]
	ds_read_b128 v[36:39], v137 offset:4032
	ds_read_b128 v[40:43], v137 offset:2304
	s_mov_b32 s24, 0x7f775887
	s_mov_b32 s28, 0xfd768dbf
	;; [unrolled: 1-line block ×4, first 2 shown]
	v_add_f64 v[2:3], v[26:27], v[4:5]
	v_fma_f64 v[4:5], v[119:120], s[8:9], -v[63:64]
	v_add_f64 v[117:118], v[30:31], v[22:23]
	v_mul_f64 v[73:74], v[75:76], s[20:21]
	s_waitcnt lgkmcnt(0)
	v_add_f64 v[129:130], v[42:43], -v[38:39]
	v_add_f64 v[87:88], v[40:41], -v[36:37]
	v_add_f64 v[6:7], v[24:25], v[6:7]
	v_fma_f64 v[101:102], v[69:70], s[24:25], v[95:96]
	v_add_f64 v[103:104], v[26:27], v[99:100]
	v_fma_f64 v[105:106], v[119:120], s[24:25], -v[111:112]
	v_mul_f64 v[99:100], v[97:98], s[28:29]
	v_mul_f64 v[115:116], v[75:76], s[28:29]
	ds_read_b128 v[44:47], v137 offset:2880
	ds_read_b128 v[48:51], v137 offset:3456
	s_mov_b32 s26, 0x9bcd5057
	s_mov_b32 s27, 0xbfeeb42a
	;; [unrolled: 1-line block ×4, first 2 shown]
	v_add_f64 v[2:3], v[4:5], v[2:3]
	v_fma_f64 v[4:5], v[117:118], s[14:15], -v[73:74]
	v_add_f64 v[79:80], v[40:41], v[36:37]
	v_mul_f64 v[77:78], v[129:130], s[18:19]
	v_add_f64 v[131:132], v[42:43], v[38:39]
	v_mul_f64 v[81:82], v[87:88], s[18:19]
	s_waitcnt lgkmcnt(0)
	v_add_f64 v[133:134], v[46:47], -v[50:51]
	v_add_f64 v[109:110], v[44:45], -v[48:49]
	v_add_f64 v[6:7], v[101:102], v[6:7]
	v_add_f64 v[107:108], v[105:106], v[103:104]
	v_fma_f64 v[125:126], v[71:72], s[26:27], v[99:100]
	v_fma_f64 v[140:141], v[117:118], s[26:27], -v[115:116]
	v_mul_f64 v[105:106], v[129:130], s[36:37]
	v_mul_f64 v[123:124], v[87:88], s[36:37]
	s_mov_b32 s31, 0xbfd207e7
	s_mov_b32 s30, s28
	;; [unrolled: 1-line block ×4, first 2 shown]
	v_add_f64 v[2:3], v[4:5], v[2:3]
	v_fma_f64 v[4:5], v[79:80], s[24:25], v[77:78]
	v_fma_f64 v[138:139], v[131:132], s[24:25], -v[81:82]
	v_add_f64 v[121:122], v[44:45], v[48:49]
	v_mul_f64 v[101:102], v[133:134], s[30:31]
	v_add_f64 v[135:136], v[46:47], v[50:51]
	v_mul_f64 v[103:104], v[109:110], s[30:31]
	v_add_f64 v[6:7], v[125:126], v[6:7]
	v_add_f64 v[140:141], v[140:141], v[107:108]
	v_fma_f64 v[142:143], v[79:80], s[14:15], v[105:106]
	v_fma_f64 v[144:145], v[131:132], s[14:15], -v[123:124]
	v_mul_f64 v[107:108], v[133:134], s[34:35]
	v_mul_f64 v[125:126], v[109:110], s[34:35]
	v_add_f64 v[0:1], v[4:5], v[0:1]
	v_add_f64 v[2:3], v[138:139], v[2:3]
	v_fma_f64 v[4:5], v[121:122], s[26:27], v[101:102]
	v_fma_f64 v[138:139], v[135:136], s[26:27], -v[103:104]
	v_add_f64 v[142:143], v[142:143], v[6:7]
	v_add_f64 v[140:141], v[144:145], v[140:141]
	v_fma_f64 v[144:145], v[121:122], s[4:5], v[107:108]
	v_fma_f64 v[146:147], v[135:136], s[4:5], -v[125:126]
	v_cmp_gt_u32_e32 vcc, 36, v56
	v_add_f64 v[4:5], v[4:5], v[0:1]
	v_add_f64 v[6:7], v[138:139], v[2:3]
	; wave barrier
	v_add_f64 v[0:1], v[144:145], v[142:143]
	v_add_f64 v[2:3], v[146:147], v[140:141]
	s_and_saveexec_b64 s[16:17], vcc
	s_cbranch_execz .LBB0_15
; %bb.14:
	v_mul_f64 v[138:139], v[113:114], s[26:27]
	v_mul_f64 v[142:143], v[93:94], s[30:31]
	v_mul_f64 v[140:141], v[119:120], s[4:5]
	v_mul_f64 v[148:149], v[91:92], s[34:35]
	v_mul_f64 v[184:185], v[117:118], s[24:25]
	s_mov_b32 s41, 0x3fe82f19
	s_mov_b32 s40, s18
	v_mul_f64 v[146:147], v[131:132], s[8:9]
	v_fma_f64 v[144:145], v[83:84], s[28:29], v[138:139]
	v_fma_f64 v[182:183], v[67:68], s[26:27], v[142:143]
	;; [unrolled: 1-line block ×3, first 2 shown]
	v_mul_f64 v[188:189], v[97:98], s[18:19]
	v_fma_f64 v[190:191], v[69:70], s[4:5], v[148:149]
	v_fma_f64 v[192:193], v[75:76], s[40:41], v[184:185]
	;; [unrolled: 1-line block ×3, first 2 shown]
	s_mov_b32 s39, 0x3fed1bb4
	v_add_f64 v[144:145], v[26:27], v[144:145]
	v_add_f64 v[182:183], v[24:25], v[182:183]
	s_mov_b32 s38, s22
	v_fma_f64 v[194:195], v[71:72], s[24:25], v[188:189]
	v_fma_f64 v[140:141], v[85:86], s[34:35], v[140:141]
	;; [unrolled: 1-line block ×3, first 2 shown]
	v_add_f64 v[138:139], v[26:27], v[138:139]
	v_fma_f64 v[184:185], v[75:76], s[18:19], v[184:185]
	v_add_f64 v[144:145], v[186:187], v[144:145]
	v_mul_f64 v[186:187], v[129:130], s[38:39]
	v_add_f64 v[182:183], v[190:191], v[182:183]
	v_mul_f64 v[190:191], v[135:136], s[14:15]
	v_fma_f64 v[146:147], v[87:88], s[38:39], v[146:147]
	v_fma_f64 v[142:143], v[67:68], s[26:27], -v[142:143]
	v_add_f64 v[138:139], v[140:141], v[138:139]
	v_fma_f64 v[148:149], v[69:70], s[4:5], -v[148:149]
	v_add_f64 v[144:145], v[192:193], v[144:145]
	v_mul_f64 v[192:193], v[133:134], s[20:21]
	v_fma_f64 v[198:199], v[79:80], s[8:9], v[186:187]
	v_add_f64 v[182:183], v[194:195], v[182:183]
	v_fma_f64 v[140:141], v[109:110], s[36:37], v[190:191]
	v_add_f64 v[142:143], v[24:25], v[142:143]
	v_add_f64 v[184:185], v[184:185], v[138:139]
	;; [unrolled: 1-line block ×4, first 2 shown]
	v_fma_f64 v[200:201], v[121:122], s[14:15], v[192:193]
	v_add_f64 v[16:17], v[24:25], v[16:17]
	v_add_f64 v[182:183], v[198:199], v[182:183]
	v_fma_f64 v[188:189], v[71:72], s[24:25], -v[188:189]
	v_mul_f64 v[204:205], v[117:118], s[4:5]
	v_add_f64 v[146:147], v[146:147], v[184:185]
	v_mul_f64 v[184:185], v[93:94], s[18:19]
	v_add_f64 v[140:141], v[140:141], v[144:145]
	v_mul_f64 v[144:145], v[113:114], s[24:25]
	v_mul_f64 v[206:207], v[91:92], s[36:37]
	v_add_f64 v[138:139], v[200:201], v[182:183]
	v_fma_f64 v[182:183], v[109:110], s[20:21], v[190:191]
	v_mul_f64 v[190:191], v[119:120], s[14:15]
	v_add_f64 v[142:143], v[148:149], v[142:143]
	v_fma_f64 v[208:209], v[67:68], s[24:25], v[184:185]
	v_add_f64 v[18:19], v[18:19], v[34:35]
	v_fma_f64 v[200:201], v[83:84], s[40:41], v[144:145]
	v_fma_f64 v[144:145], v[83:84], s[18:19], v[144:145]
	v_add_f64 v[16:17], v[16:17], v[32:33]
	v_fma_f64 v[148:149], v[79:80], s[8:9], -v[186:187]
	v_fma_f64 v[210:211], v[85:86], s[20:21], v[190:191]
	v_fma_f64 v[190:191], v[85:86], s[36:37], v[190:191]
	v_mul_f64 v[186:187], v[131:132], s[26:27]
	v_mul_f64 v[212:213], v[97:98], s[6:7]
	v_add_f64 v[200:201], v[26:27], v[200:201]
	v_add_f64 v[220:221], v[26:27], v[144:145]
	v_fma_f64 v[214:215], v[69:70], s[14:15], v[206:207]
	v_add_f64 v[208:209], v[24:25], v[208:209]
	v_fma_f64 v[216:217], v[75:76], s[34:35], v[204:205]
	v_add_f64 v[142:143], v[188:189], v[142:143]
	v_mul_f64 v[152:153], v[113:114], s[4:5]
	v_mul_f64 v[156:157], v[113:114], s[8:9]
	v_add_f64 v[200:201], v[210:211], v[200:201]
	v_add_f64 v[144:145], v[182:183], v[146:147]
	v_fma_f64 v[182:183], v[75:76], s[6:7], v[204:205]
	v_add_f64 v[190:191], v[190:191], v[220:221]
	v_mul_f64 v[113:114], v[113:114], s[14:15]
	v_add_f64 v[18:19], v[18:19], v[30:31]
	v_add_f64 v[16:17], v[16:17], v[28:29]
	v_fma_f64 v[192:193], v[121:122], s[14:15], -v[192:193]
	v_mul_f64 v[188:189], v[135:136], s[8:9]
	v_mul_f64 v[210:211], v[129:130], s[30:31]
	v_fma_f64 v[218:219], v[71:72], s[4:5], v[212:213]
	v_add_f64 v[208:209], v[214:215], v[208:209]
	v_fma_f64 v[214:215], v[87:88], s[28:29], v[186:187]
	v_add_f64 v[200:201], v[216:217], v[200:201]
	v_add_f64 v[142:143], v[148:149], v[142:143]
	v_fma_f64 v[184:185], v[67:68], s[24:25], -v[184:185]
	v_mul_f64 v[160:161], v[119:120], s[8:9]
	v_mul_f64 v[164:165], v[119:120], s[24:25]
	v_fma_f64 v[186:187], v[87:88], s[30:31], v[186:187]
	v_add_f64 v[182:183], v[182:183], v[190:191]
	v_mul_f64 v[119:120], v[119:120], s[26:27]
	v_mul_f64 v[190:191], v[93:94], s[20:21]
	v_fma_f64 v[93:94], v[83:84], s[36:37], v[113:114]
	v_fma_f64 v[83:84], v[83:84], s[20:21], v[113:114]
	v_add_f64 v[18:19], v[18:19], v[42:43]
	v_add_f64 v[16:17], v[16:17], v[40:41]
	v_mul_f64 v[150:151], v[67:68], s[4:5]
	v_mul_f64 v[154:155], v[67:68], s[8:9]
	v_fma_f64 v[148:149], v[79:80], s[26:27], v[210:211]
	v_add_f64 v[208:209], v[218:219], v[208:209]
	v_fma_f64 v[218:219], v[109:110], s[22:23], v[188:189]
	v_add_f64 v[200:201], v[214:215], v[200:201]
	v_add_f64 v[142:143], v[192:193], v[142:143]
	v_fma_f64 v[192:193], v[69:70], s[14:15], -v[206:207]
	v_add_f64 v[184:185], v[24:25], v[184:185]
	v_mul_f64 v[216:217], v[133:134], s[38:39]
	v_add_f64 v[182:183], v[186:187], v[182:183]
	v_fma_f64 v[186:187], v[85:86], s[30:31], v[119:120]
	v_fma_f64 v[85:86], v[85:86], s[28:29], v[119:120]
	v_add_f64 v[83:84], v[26:27], v[83:84]
	v_add_f64 v[127:128], v[127:128], v[156:157]
	v_add_f64 v[61:62], v[61:62], v[152:153]
	v_add_f64 v[18:19], v[18:19], v[46:47]
	v_add_f64 v[16:17], v[16:17], v[44:45]
	v_mul_f64 v[158:159], v[69:70], s[8:9]
	v_add_f64 v[44:45], v[150:151], -v[57:58]
	v_mul_f64 v[162:163], v[69:70], s[24:25]
	v_mul_f64 v[168:169], v[117:118], s[14:15]
	;; [unrolled: 1-line block ×3, first 2 shown]
	v_add_f64 v[204:205], v[148:149], v[208:209]
	v_add_f64 v[148:149], v[218:219], v[200:201]
	v_fma_f64 v[200:201], v[71:72], s[4:5], -v[212:213]
	v_add_f64 v[184:185], v[192:193], v[184:185]
	v_mul_f64 v[117:118], v[117:118], s[8:9]
	v_mul_f64 v[192:193], v[91:92], s[28:29]
	v_fma_f64 v[91:92], v[67:68], s[14:15], v[190:191]
	v_fma_f64 v[67:68], v[67:68], s[14:15], -v[190:191]
	v_add_f64 v[46:47], v[154:155], -v[89:90]
	v_fma_f64 v[146:147], v[121:122], s[8:9], v[216:217]
	v_add_f64 v[93:94], v[26:27], v[93:94]
	v_add_f64 v[83:84], v[85:86], v[83:84]
	;; [unrolled: 1-line block ×8, first 2 shown]
	v_mul_f64 v[166:167], v[71:72], s[14:15]
	v_add_f64 v[59:60], v[158:159], -v[59:60]
	v_add_f64 v[44:45], v[24:25], v[44:45]
	v_mul_f64 v[170:171], v[71:72], s[26:27]
	v_mul_f64 v[176:177], v[131:132], s[24:25]
	;; [unrolled: 1-line block ×3, first 2 shown]
	v_add_f64 v[184:185], v[200:201], v[184:185]
	v_mul_f64 v[131:132], v[131:132], s[4:5]
	v_fma_f64 v[200:201], v[75:76], s[22:23], v[117:118]
	v_add_f64 v[91:92], v[24:25], v[91:92]
	v_fma_f64 v[75:76], v[75:76], s[38:39], v[117:118]
	v_add_f64 v[67:68], v[24:25], v[67:68]
	v_add_f64 v[57:58], v[162:163], -v[95:96]
	v_add_f64 v[24:25], v[24:25], v[46:47]
	v_mul_f64 v[97:98], v[97:98], s[38:39]
	v_fma_f64 v[34:35], v[69:70], s[26:27], -v[192:193]
	v_add_f64 v[146:147], v[146:147], v[204:205]
	v_fma_f64 v[204:205], v[79:80], s[26:27], -v[210:211]
	v_fma_f64 v[206:207], v[69:70], s[26:27], v[192:193]
	v_add_f64 v[48:49], v[73:74], v[168:169]
	v_add_f64 v[26:27], v[63:64], v[26:27]
	;; [unrolled: 1-line block ×4, first 2 shown]
	v_mul_f64 v[174:175], v[79:80], s[24:25]
	v_add_f64 v[50:51], v[166:167], -v[65:66]
	v_add_f64 v[36:37], v[59:60], v[44:45]
	v_mul_f64 v[178:179], v[79:80], s[14:15]
	v_fma_f64 v[32:33], v[87:88], s[6:7], v[131:132]
	v_add_f64 v[69:70], v[75:76], v[83:84]
	v_add_f64 v[75:76], v[115:116], v[172:173]
	;; [unrolled: 1-line block ×3, first 2 shown]
	v_add_f64 v[46:47], v[170:171], -v[99:100]
	v_add_f64 v[24:25], v[57:58], v[24:25]
	v_mul_f64 v[129:130], v[129:130], s[6:7]
	v_fma_f64 v[30:31], v[71:72], s[8:9], -v[97:98]
	v_add_f64 v[34:35], v[34:35], v[67:68]
	v_mul_f64 v[196:197], v[135:136], s[26:27]
	v_fma_f64 v[188:189], v[109:110], s[38:39], v[188:189]
	v_add_f64 v[93:94], v[186:187], v[93:94]
	v_fma_f64 v[186:187], v[121:122], s[8:9], -v[216:217]
	v_add_f64 v[184:185], v[204:205], v[184:185]
	v_fma_f64 v[208:209], v[71:72], s[8:9], v[97:98]
	v_add_f64 v[206:207], v[206:207], v[91:92]
	v_add_f64 v[44:45], v[81:82], v[176:177]
	;; [unrolled: 1-line block ×5, first 2 shown]
	v_mul_f64 v[194:195], v[121:122], s[26:27]
	v_add_f64 v[48:49], v[174:175], -v[77:78]
	v_add_f64 v[20:21], v[50:51], v[36:37]
	v_mul_f64 v[198:199], v[121:122], s[4:5]
	v_mul_f64 v[202:203], v[135:136], s[4:5]
	v_add_f64 v[32:33], v[32:33], v[69:70]
	v_add_f64 v[67:68], v[123:124], v[180:181]
	;; [unrolled: 1-line block ×3, first 2 shown]
	v_add_f64 v[38:39], v[178:179], -v[105:106]
	v_add_f64 v[22:23], v[46:47], v[24:25]
	v_mul_f64 v[135:136], v[135:136], s[24:25]
	v_mul_f64 v[113:114], v[133:134], s[18:19]
	v_fma_f64 v[42:43], v[79:80], s[4:5], -v[129:130]
	v_add_f64 v[30:31], v[30:31], v[34:35]
	v_fma_f64 v[204:205], v[87:88], s[34:35], v[131:132]
	v_add_f64 v[200:201], v[200:201], v[93:94]
	v_add_f64 v[93:94], v[188:189], v[182:183]
	;; [unrolled: 1-line block ×3, first 2 shown]
	v_fma_f64 v[182:183], v[79:80], s[4:5], v[129:130]
	v_add_f64 v[184:185], v[208:209], v[206:207]
	v_add_f64 v[24:25], v[103:104], v[196:197]
	;; [unrolled: 1-line block ×5, first 2 shown]
	v_add_f64 v[44:45], v[194:195], -v[101:102]
	v_add_f64 v[46:47], v[48:49], v[20:21]
	v_add_f64 v[34:35], v[125:126], v[202:203]
	;; [unrolled: 1-line block ×3, first 2 shown]
	v_add_f64 v[36:37], v[198:199], -v[107:108]
	v_add_f64 v[38:39], v[38:39], v[22:23]
	v_fma_f64 v[28:29], v[109:110], s[18:19], v[135:136]
	v_fma_f64 v[40:41], v[121:122], s[24:25], -v[113:114]
	v_add_f64 v[30:31], v[42:43], v[30:31]
	v_fma_f64 v[133:134], v[109:110], s[40:41], v[135:136]
	v_add_f64 v[186:187], v[204:205], v[200:201]
	v_fma_f64 v[119:120], v[121:122], s[24:25], v[113:114]
	v_add_f64 v[156:157], v[182:183], v[184:185]
	v_add_f64 v[20:21], v[24:25], v[26:27]
	;; [unrolled: 1-line block ×9, first 2 shown]
	s_movk_i32 s4, 0xa0
	v_mad_u32_u24 v8, v56, s4, v137
	v_add_f64 v[28:29], v[133:134], v[186:187]
	v_add_f64 v[26:27], v[119:120], v[156:157]
	ds_write_b128 v8, v[22:25]
	ds_write_b128 v8, v[18:21] offset:16
	ds_write_b128 v8, v[14:17] offset:32
	;; [unrolled: 1-line block ×10, first 2 shown]
.LBB0_15:
	s_or_b64 exec, exec, s[16:17]
	s_movk_i32 s4, 0x75
	v_mul_lo_u16_sdwa v8, v56, s4 dst_sel:DWORD dst_unused:UNUSED_PAD src0_sel:BYTE_0 src1_sel:DWORD
	v_sub_u16_sdwa v9, v56, v8 dst_sel:DWORD dst_unused:UNUSED_PAD src0_sel:DWORD src1_sel:BYTE_1
	v_lshrrev_b16_e32 v9, 1, v9
	v_and_b32_e32 v9, 0x7f, v9
	v_add_u16_sdwa v8, v9, v8 dst_sel:DWORD dst_unused:UNUSED_PAD src0_sel:DWORD src1_sel:BYTE_1
	v_lshrrev_b16_e32 v97, 3, v8
	v_mul_lo_u16_e32 v8, 11, v97
	v_sub_u16_e32 v98, v56, v8
	v_mov_b32_e32 v8, 7
	v_lshlrev_b32_sdwa v40, v8, v98 dst_sel:DWORD dst_unused:UNUSED_PAD src0_sel:DWORD src1_sel:BYTE_0
	s_load_dwordx2 s[2:3], s[2:3], 0x0
	s_waitcnt lgkmcnt(0)
	; wave barrier
	s_waitcnt lgkmcnt(0)
	global_load_dwordx4 v[8:11], v40, s[12:13]
	global_load_dwordx4 v[12:15], v40, s[12:13] offset:16
	global_load_dwordx4 v[16:19], v40, s[12:13] offset:32
	;; [unrolled: 1-line block ×7, first 2 shown]
	ds_read_b128 v[40:43], v137
	ds_read_b128 v[44:47], v137 offset:704
	ds_read_b128 v[48:51], v137 offset:1408
	;; [unrolled: 1-line block ×8, first 2 shown]
	s_mov_b32 s22, 0xa2cf5039
	s_mov_b32 s9, 0x3fe491b7
	;; [unrolled: 1-line block ×16, first 2 shown]
	s_waitcnt lgkmcnt(0)
	; wave barrier
	s_waitcnt lgkmcnt(0)
	v_cmp_gt_u32_e32 vcc, 11, v56
	s_waitcnt vmcnt(7)
	v_mul_f64 v[81:82], v[46:47], v[10:11]
	v_mul_f64 v[10:11], v[44:45], v[10:11]
	s_waitcnt vmcnt(6)
	v_mul_f64 v[83:84], v[50:51], v[14:15]
	v_mul_f64 v[14:15], v[48:49], v[14:15]
	;; [unrolled: 3-line block ×5, first 2 shown]
	v_mul_f64 v[89:90], v[67:68], v[26:27]
	v_mul_f64 v[26:27], v[65:66], v[26:27]
	;; [unrolled: 1-line block ×6, first 2 shown]
	v_fma_f64 v[44:45], v[44:45], v[8:9], -v[81:82]
	v_fma_f64 v[8:9], v[46:47], v[8:9], v[10:11]
	v_fma_f64 v[10:11], v[48:49], v[12:13], -v[83:84]
	v_fma_f64 v[12:13], v[50:51], v[12:13], v[14:15]
	v_fma_f64 v[14:15], v[57:58], v[16:17], -v[85:86]
	v_fma_f64 v[16:17], v[59:60], v[16:17], v[18:19]
	v_fma_f64 v[46:47], v[61:62], v[20:21], -v[87:88]
	v_fma_f64 v[20:21], v[63:64], v[20:21], v[22:23]
	v_fma_f64 v[18:19], v[77:78], v[36:37], -v[95:96]
	v_fma_f64 v[22:23], v[79:80], v[36:37], v[38:39]
	v_fma_f64 v[36:37], v[73:74], v[32:33], -v[93:94]
	v_fma_f64 v[32:33], v[75:76], v[32:33], v[34:35]
	v_fma_f64 v[34:35], v[69:70], v[28:29], -v[91:92]
	v_fma_f64 v[28:29], v[71:72], v[28:29], v[30:31]
	v_fma_f64 v[30:31], v[65:66], v[24:25], -v[89:90]
	v_fma_f64 v[24:25], v[67:68], v[24:25], v[26:27]
	v_add_f64 v[26:27], v[44:45], v[18:19]
	v_add_f64 v[38:39], v[8:9], v[22:23]
	v_add_f64 v[44:45], v[44:45], -v[18:19]
	v_add_f64 v[22:23], v[8:9], -v[22:23]
	v_add_f64 v[48:49], v[10:11], v[36:37]
	v_add_f64 v[50:51], v[12:13], v[32:33]
	v_add_f64 v[57:58], v[14:15], v[34:35]
	v_add_f64 v[8:9], v[10:11], -v[36:37]
	v_add_f64 v[10:11], v[12:13], -v[32:33]
	;; [unrolled: 1-line block ×3, first 2 shown]
	v_mul_f64 v[34:35], v[44:45], s[8:9]
	v_mul_f64 v[36:37], v[22:23], s[8:9]
	v_fma_f64 v[63:64], v[38:39], s[22:23], v[42:43]
	v_add_f64 v[59:60], v[16:17], v[28:29]
	v_add_f64 v[16:17], v[16:17], -v[28:29]
	v_add_f64 v[28:29], v[46:47], v[30:31]
	v_add_f64 v[14:15], v[20:21], -v[24:25]
	v_fma_f64 v[61:62], v[26:27], s[22:23], v[40:41]
	v_fma_f64 v[34:35], v[8:9], s[14:15], v[34:35]
	;; [unrolled: 1-line block ×4, first 2 shown]
	v_add_f64 v[12:13], v[46:47], -v[30:31]
	v_add_f64 v[32:33], v[20:21], v[24:25]
	s_mov_b32 s9, 0xbfe491b7
	v_fma_f64 v[65:66], v[28:29], s[22:23], v[40:41]
	v_mul_f64 v[91:92], v[14:15], s[8:9]
	v_fma_f64 v[61:62], v[48:49], s[18:19], v[61:62]
	v_fma_f64 v[34:35], v[18:19], s[4:5], v[34:35]
	;; [unrolled: 1-line block ×3, first 2 shown]
	v_fma_f64 v[63:64], v[59:60], -0.5, v[63:64]
	v_fma_f64 v[67:68], v[32:33], s[22:23], v[42:43]
	v_mul_f64 v[89:90], v[12:13], s[8:9]
	v_add_f64 v[71:72], v[14:15], v[22:23]
	v_mul_f64 v[83:84], v[14:15], s[14:15]
	v_fma_f64 v[65:66], v[26:27], s[18:19], v[65:66]
	v_fma_f64 v[91:92], v[22:23], s[14:15], v[91:92]
	v_fma_f64 v[61:62], v[57:58], -0.5, v[61:62]
	v_fma_f64 v[34:35], v[12:13], s[6:7], v[34:35]
	v_fma_f64 v[36:37], v[14:15], s[6:7], v[36:37]
	;; [unrolled: 1-line block ×3, first 2 shown]
	v_add_f64 v[77:78], v[48:49], v[26:27]
	v_add_f64 v[79:80], v[50:51], v[38:39]
	v_mul_f64 v[81:82], v[12:13], s[14:15]
	v_fma_f64 v[85:86], v[48:49], s[22:23], v[40:41]
	v_fma_f64 v[87:88], v[50:51], s[22:23], v[42:43]
	;; [unrolled: 1-line block ×4, first 2 shown]
	v_add_f64 v[69:70], v[12:13], v[44:45]
	v_fma_f64 v[65:66], v[57:58], -0.5, v[65:66]
	v_fma_f64 v[91:92], v[16:17], s[20:21], v[91:92]
	v_fma_f64 v[12:13], v[28:29], s[16:17], v[61:62]
	v_add_f64 v[14:15], v[14:15], -v[34:35]
	v_add_f64 v[93:94], v[28:29], v[77:78]
	v_add_f64 v[95:96], v[32:33], v[79:80]
	v_fma_f64 v[81:82], v[8:9], s[8:9], -v[81:82]
	v_fma_f64 v[67:68], v[59:60], -0.5, v[67:68]
	v_fma_f64 v[89:90], v[18:19], s[20:21], v[89:90]
	v_fma_f64 v[61:62], v[10:11], s[8:9], -v[83:84]
	v_fma_f64 v[28:29], v[28:29], s[18:19], v[85:86]
	v_fma_f64 v[32:33], v[32:33], s[18:19], v[87:88]
	v_add_f64 v[73:74], v[40:41], v[57:58]
	v_add_f64 v[75:76], v[42:43], v[59:60]
	v_add_f64 v[71:72], v[71:72], -v[10:11]
	v_add_f64 v[63:64], v[57:58], v[77:78]
	v_fma_f64 v[48:49], v[48:49], s[16:17], v[65:66]
	v_fma_f64 v[65:66], v[10:11], s[6:7], v[91:92]
	v_add_f64 v[12:13], v[36:37], v[12:13]
	v_fma_f64 v[10:11], v[34:35], 2.0, v[14:15]
	v_add_f64 v[34:35], v[59:60], v[79:80]
	v_fma_f64 v[50:51], v[50:51], s[16:17], v[67:68]
	v_fma_f64 v[67:68], v[8:9], s[6:7], v[89:90]
	;; [unrolled: 1-line block ×4, first 2 shown]
	v_fma_f64 v[28:29], v[57:58], -0.5, v[28:29]
	v_fma_f64 v[32:33], v[59:60], -0.5, v[32:33]
	v_add_f64 v[69:70], v[69:70], -v[8:9]
	v_add_f64 v[16:17], v[65:66], v[48:49]
	v_fma_f64 v[8:9], v[36:37], -2.0, v[12:13]
	v_fma_f64 v[36:37], v[93:94], -0.5, v[73:74]
	;; [unrolled: 1-line block ×3, first 2 shown]
	v_add_f64 v[46:47], v[46:47], v[63:64]
	v_add_f64 v[34:35], v[20:21], v[34:35]
	v_add_f64 v[18:19], v[50:51], -v[67:68]
	v_fma_f64 v[44:45], v[44:45], s[6:7], v[77:78]
	v_fma_f64 v[50:51], v[22:23], s[6:7], v[61:62]
	;; [unrolled: 1-line block ×4, first 2 shown]
	v_mul_f64 v[38:39], v[69:70], s[4:5]
	v_fma_f64 v[20:21], v[71:72], s[4:5], v[36:37]
	v_fma_f64 v[22:23], v[69:70], s[20:21], v[48:49]
	v_add_f64 v[36:37], v[30:31], v[46:47]
	v_add_f64 v[46:47], v[24:25], v[34:35]
	v_mul_f64 v[32:33], v[71:72], s[4:5]
	v_add_f64 v[24:25], v[50:51], v[26:27]
	v_add_f64 v[26:27], v[28:29], -v[44:45]
	v_fma_f64 v[28:29], v[65:66], -2.0, v[16:17]
	v_fma_f64 v[30:31], v[67:68], 2.0, v[18:19]
	v_fma_f64 v[34:35], v[38:39], 2.0, v[22:23]
	v_add_f64 v[36:37], v[40:41], v[36:37]
	v_add_f64 v[38:39], v[42:43], v[46:47]
	v_fma_f64 v[32:33], v[32:33], -2.0, v[20:21]
	v_fma_f64 v[40:41], v[50:51], -2.0, v[24:25]
	v_fma_f64 v[42:43], v[44:45], 2.0, v[26:27]
	v_mov_b32_e32 v45, 4
	v_mul_u32_u24_e32 v44, 0x630, v97
	v_lshlrev_b32_sdwa v45, v45, v98 dst_sel:DWORD dst_unused:UNUSED_PAD src0_sel:DWORD src1_sel:BYTE_0
	v_add3_u32 v44, 0, v44, v45
	ds_write_b128 v44, v[36:39]
	ds_write_b128 v44, v[12:15] offset:176
	ds_write_b128 v44, v[16:19] offset:352
	;; [unrolled: 1-line block ×8, first 2 shown]
	s_waitcnt lgkmcnt(0)
	; wave barrier
	s_waitcnt lgkmcnt(0)
	ds_read_b128 v[16:19], v137
	ds_read_b128 v[20:23], v137 offset:704
	ds_read_b128 v[36:39], v137 offset:1584
	;; [unrolled: 1-line block ×7, first 2 shown]
                                        ; implicit-def: $vgpr14_vgpr15
	s_and_saveexec_b64 s[4:5], vcc
	s_cbranch_execz .LBB0_17
; %bb.16:
	ds_read_b128 v[8:11], v137 offset:1408
	ds_read_b128 v[0:3], v137 offset:2992
	;; [unrolled: 1-line block ×4, first 2 shown]
.LBB0_17:
	s_or_b64 exec, exec, s[4:5]
	v_mul_u32_u24_e32 v48, 3, v56
	v_lshlrev_b32_e32 v77, 4, v48
	global_load_dwordx4 v[48:51], v77, s[12:13] offset:1408
	global_load_dwordx4 v[57:60], v77, s[12:13] offset:1424
	;; [unrolled: 1-line block ×6, first 2 shown]
	s_waitcnt lgkmcnt(0)
	; wave barrier
	s_waitcnt vmcnt(5) lgkmcnt(0)
	v_mul_f64 v[77:78], v[38:39], v[50:51]
	v_mul_f64 v[50:51], v[36:37], v[50:51]
	s_waitcnt vmcnt(4)
	v_mul_f64 v[79:80], v[42:43], v[59:60]
	v_mul_f64 v[59:60], v[40:41], v[59:60]
	s_waitcnt vmcnt(3)
	;; [unrolled: 3-line block ×5, first 2 shown]
	v_mul_f64 v[87:88], v[34:35], v[75:76]
	v_mul_f64 v[75:76], v[32:33], v[75:76]
	v_fma_f64 v[36:37], v[36:37], v[48:49], -v[77:78]
	v_fma_f64 v[38:39], v[38:39], v[48:49], v[50:51]
	v_fma_f64 v[40:41], v[40:41], v[57:58], -v[79:80]
	v_fma_f64 v[42:43], v[42:43], v[57:58], v[59:60]
	;; [unrolled: 2-line block ×6, first 2 shown]
	v_add_f64 v[40:41], v[16:17], -v[40:41]
	v_add_f64 v[42:43], v[18:19], -v[42:43]
	;; [unrolled: 1-line block ×8, first 2 shown]
	v_fma_f64 v[57:58], v[16:17], 2.0, -v[40:41]
	v_fma_f64 v[59:60], v[18:19], 2.0, -v[42:43]
	v_fma_f64 v[32:33], v[36:37], 2.0, -v[44:45]
	v_fma_f64 v[34:35], v[38:39], 2.0, -v[46:47]
	v_fma_f64 v[61:62], v[20:21], 2.0, -v[48:49]
	v_fma_f64 v[63:64], v[22:23], 2.0, -v[50:51]
	v_fma_f64 v[36:37], v[24:25], 2.0, -v[28:29]
	v_fma_f64 v[38:39], v[26:27], 2.0, -v[30:31]
	v_add_f64 v[16:17], v[40:41], -v[46:47]
	v_add_f64 v[18:19], v[42:43], v[44:45]
	v_add_f64 v[20:21], v[48:49], -v[30:31]
	v_add_f64 v[22:23], v[50:51], v[28:29]
	v_add_f64 v[24:25], v[57:58], -v[32:33]
	v_add_f64 v[26:27], v[59:60], -v[34:35]
	;; [unrolled: 1-line block ×4, first 2 shown]
	v_fma_f64 v[32:33], v[40:41], 2.0, -v[16:17]
	v_fma_f64 v[34:35], v[42:43], 2.0, -v[18:19]
	;; [unrolled: 1-line block ×8, first 2 shown]
	ds_write_b128 v137, v[16:19] offset:4752
	ds_write_b128 v137, v[32:35] offset:1584
	;; [unrolled: 1-line block ×5, first 2 shown]
	ds_write_b128 v137, v[40:43]
	ds_write_b128 v137, v[44:47] offset:704
	ds_write_b128 v137, v[20:23] offset:5456
	s_and_saveexec_b64 s[4:5], vcc
	s_cbranch_execz .LBB0_19
; %bb.18:
	v_add_u32_e32 v16, 0x58, v56
	v_add_u32_e32 v17, -11, v56
	v_cndmask_b32_e32 v16, v17, v16, vcc
	v_mul_i32_i24_e32 v16, 3, v16
	v_mov_b32_e32 v17, 0
	v_lshlrev_b64 v[16:17], 4, v[16:17]
	v_mov_b32_e32 v18, s13
	v_add_co_u32_e32 v28, vcc, s12, v16
	v_addc_co_u32_e32 v29, vcc, v18, v17, vcc
	global_load_dwordx4 v[16:19], v[28:29], off offset:1424
	global_load_dwordx4 v[20:23], v[28:29], off offset:1408
	;; [unrolled: 1-line block ×3, first 2 shown]
	s_waitcnt vmcnt(2)
	v_mul_f64 v[28:29], v[4:5], v[18:19]
	s_waitcnt vmcnt(1)
	v_mul_f64 v[30:31], v[2:3], v[22:23]
	v_mul_f64 v[22:23], v[0:1], v[22:23]
	s_waitcnt vmcnt(0)
	v_mul_f64 v[32:33], v[12:13], v[26:27]
	v_mul_f64 v[18:19], v[6:7], v[18:19]
	;; [unrolled: 1-line block ×3, first 2 shown]
	v_fma_f64 v[6:7], v[6:7], v[16:17], v[28:29]
	v_fma_f64 v[0:1], v[0:1], v[20:21], -v[30:31]
	v_fma_f64 v[2:3], v[2:3], v[20:21], v[22:23]
	v_fma_f64 v[14:15], v[14:15], v[24:25], v[32:33]
	v_fma_f64 v[4:5], v[4:5], v[16:17], -v[18:19]
	v_fma_f64 v[12:13], v[12:13], v[24:25], -v[26:27]
	v_add_f64 v[16:17], v[10:11], -v[6:7]
	v_add_f64 v[6:7], v[2:3], -v[14:15]
	;; [unrolled: 1-line block ×4, first 2 shown]
	v_fma_f64 v[12:13], v[10:11], 2.0, -v[16:17]
	v_fma_f64 v[10:11], v[2:3], 2.0, -v[6:7]
	v_fma_f64 v[18:19], v[8:9], 2.0, -v[14:15]
	v_fma_f64 v[8:9], v[0:1], 2.0, -v[4:5]
	v_add_f64 v[2:3], v[16:17], v[4:5]
	v_add_f64 v[0:1], v[14:15], -v[6:7]
	v_add_f64 v[6:7], v[12:13], -v[10:11]
	;; [unrolled: 1-line block ×3, first 2 shown]
	v_fma_f64 v[10:11], v[16:17], 2.0, -v[2:3]
	v_fma_f64 v[8:9], v[14:15], 2.0, -v[0:1]
	;; [unrolled: 1-line block ×4, first 2 shown]
	ds_write_b128 v137, v[8:11] offset:2992
	ds_write_b128 v137, v[4:7] offset:4576
	;; [unrolled: 1-line block ×4, first 2 shown]
.LBB0_19:
	s_or_b64 exec, exec, s[4:5]
	s_waitcnt lgkmcnt(0)
	; wave barrier
	s_waitcnt lgkmcnt(0)
	ds_read_b128 v[4:7], v137
	s_add_u32 s6, s12, 0x1810
	v_lshlrev_b32_e32 v0, 4, v56
	s_addc_u32 s7, s13, 0
	v_sub_u32_e32 v12, 0, v0
	v_cmp_ne_u32_e32 vcc, 0, v56
                                        ; implicit-def: $vgpr2_vgpr3
                                        ; implicit-def: $vgpr8_vgpr9
                                        ; implicit-def: $vgpr10_vgpr11
	s_and_saveexec_b64 s[4:5], vcc
	s_xor_b64 s[4:5], exec, s[4:5]
	s_cbranch_execz .LBB0_21
; %bb.20:
	v_mov_b32_e32 v57, 0
	v_lshlrev_b64 v[0:1], 4, v[56:57]
	v_mov_b32_e32 v2, s7
	v_add_co_u32_e32 v0, vcc, s6, v0
	v_addc_co_u32_e32 v1, vcc, v2, v1, vcc
	global_load_dwordx4 v[0:3], v[0:1], off
	ds_read_b128 v[8:11], v12 offset:6336
	s_waitcnt lgkmcnt(0)
	v_add_f64 v[13:14], v[4:5], -v[8:9]
	v_add_f64 v[15:16], v[6:7], v[10:11]
	v_add_f64 v[6:7], v[6:7], -v[10:11]
	v_add_f64 v[4:5], v[4:5], v[8:9]
	v_mul_f64 v[10:11], v[13:14], 0.5
	v_mul_f64 v[13:14], v[15:16], 0.5
	;; [unrolled: 1-line block ×3, first 2 shown]
	s_waitcnt vmcnt(0)
	v_mul_f64 v[8:9], v[10:11], v[2:3]
	v_fma_f64 v[15:16], v[13:14], v[2:3], v[6:7]
	v_fma_f64 v[2:3], v[13:14], v[2:3], -v[6:7]
	v_fma_f64 v[17:18], v[4:5], 0.5, v[8:9]
	v_fma_f64 v[4:5], v[4:5], 0.5, -v[8:9]
	v_fma_f64 v[8:9], -v[0:1], v[10:11], v[15:16]
	v_fma_f64 v[2:3], -v[0:1], v[10:11], v[2:3]
	v_mov_b32_e32 v10, v56
	v_mov_b32_e32 v11, v57
	v_fma_f64 v[6:7], v[13:14], v[0:1], v[17:18]
	v_fma_f64 v[0:1], -v[13:14], v[0:1], v[4:5]
                                        ; implicit-def: $vgpr4_vgpr5
	ds_write_b64 v137, v[6:7]
.LBB0_21:
	s_andn2_saveexec_b64 s[4:5], s[4:5]
	s_cbranch_execz .LBB0_23
; %bb.22:
	s_waitcnt lgkmcnt(0)
	v_add_f64 v[2:3], v[4:5], v[6:7]
	v_mov_b32_e32 v15, 0
	ds_read_b64 v[13:14], v15 offset:3176
	v_add_f64 v[0:1], v[4:5], -v[6:7]
	v_mov_b32_e32 v8, 0
	v_mov_b32_e32 v10, 0
	;; [unrolled: 1-line block ×3, first 2 shown]
	s_waitcnt lgkmcnt(0)
	v_xor_b32_e32 v14, 0x80000000, v14
	ds_write_b64 v15, v[13:14] offset:3176
	ds_write_b64 v137, v[2:3]
	v_mov_b32_e32 v2, v8
	v_mov_b32_e32 v11, 0
	;; [unrolled: 1-line block ×3, first 2 shown]
.LBB0_23:
	s_or_b64 exec, exec, s[4:5]
	s_waitcnt lgkmcnt(0)
	v_lshlrev_b64 v[4:5], 4, v[10:11]
	v_mov_b32_e32 v6, s7
	v_add_co_u32_e32 v4, vcc, s6, v4
	v_addc_co_u32_e32 v5, vcc, v6, v5, vcc
	global_load_dwordx4 v[13:16], v[4:5], off offset:704
	global_load_dwordx4 v[17:20], v[4:5], off offset:1408
	ds_write_b64 v137, v[8:9] offset:8
	ds_write_b128 v12, v[0:3] offset:6336
	ds_read_b128 v[0:3], v137 offset:704
	ds_read_b128 v[6:9], v12 offset:5632
	v_cmp_gt_u32_e32 vcc, 22, v56
	s_waitcnt lgkmcnt(0)
	v_add_f64 v[10:11], v[0:1], -v[6:7]
	v_add_f64 v[21:22], v[2:3], v[8:9]
	v_add_f64 v[2:3], v[2:3], -v[8:9]
	v_add_f64 v[0:1], v[0:1], v[6:7]
	v_mul_f64 v[10:11], v[10:11], 0.5
	v_mul_f64 v[21:22], v[21:22], 0.5
	;; [unrolled: 1-line block ×3, first 2 shown]
	s_waitcnt vmcnt(1)
	v_mul_f64 v[6:7], v[10:11], v[15:16]
	v_fma_f64 v[8:9], v[21:22], v[15:16], v[2:3]
	v_fma_f64 v[15:16], v[21:22], v[15:16], -v[2:3]
	v_fma_f64 v[23:24], v[0:1], 0.5, v[6:7]
	v_fma_f64 v[25:26], v[0:1], 0.5, -v[6:7]
	global_load_dwordx4 v[0:3], v[4:5], off offset:2112
	v_fma_f64 v[8:9], -v[13:14], v[10:11], v[8:9]
	v_fma_f64 v[15:16], -v[13:14], v[10:11], v[15:16]
	v_fma_f64 v[6:7], v[21:22], v[13:14], v[23:24]
	v_fma_f64 v[13:14], -v[21:22], v[13:14], v[25:26]
	ds_write_b128 v137, v[6:9] offset:704
	ds_write_b128 v12, v[13:16] offset:5632
	ds_read_b128 v[6:9], v137 offset:1408
	ds_read_b128 v[13:16], v12 offset:4928
	s_waitcnt lgkmcnt(0)
	v_add_f64 v[10:11], v[6:7], -v[13:14]
	v_add_f64 v[21:22], v[8:9], v[15:16]
	v_add_f64 v[8:9], v[8:9], -v[15:16]
	v_add_f64 v[6:7], v[6:7], v[13:14]
	v_mul_f64 v[10:11], v[10:11], 0.5
	v_mul_f64 v[21:22], v[21:22], 0.5
	;; [unrolled: 1-line block ×3, first 2 shown]
	s_waitcnt vmcnt(1)
	v_mul_f64 v[13:14], v[10:11], v[19:20]
	v_fma_f64 v[15:16], v[21:22], v[19:20], v[8:9]
	v_fma_f64 v[19:20], v[21:22], v[19:20], -v[8:9]
	v_fma_f64 v[23:24], v[6:7], 0.5, v[13:14]
	v_fma_f64 v[13:14], v[6:7], 0.5, -v[13:14]
	v_fma_f64 v[8:9], -v[17:18], v[10:11], v[15:16]
	v_fma_f64 v[15:16], -v[17:18], v[10:11], v[19:20]
	v_fma_f64 v[6:7], v[21:22], v[17:18], v[23:24]
	v_fma_f64 v[13:14], -v[21:22], v[17:18], v[13:14]
	ds_write_b128 v137, v[6:9] offset:1408
	ds_write_b128 v12, v[13:16] offset:4928
	ds_read_b128 v[6:9], v137 offset:2112
	ds_read_b128 v[13:16], v12 offset:4224
	s_waitcnt lgkmcnt(0)
	v_add_f64 v[10:11], v[6:7], -v[13:14]
	v_add_f64 v[17:18], v[8:9], v[15:16]
	v_add_f64 v[8:9], v[8:9], -v[15:16]
	v_add_f64 v[6:7], v[6:7], v[13:14]
	v_mul_f64 v[10:11], v[10:11], 0.5
	v_mul_f64 v[15:16], v[17:18], 0.5
	;; [unrolled: 1-line block ×3, first 2 shown]
	s_waitcnt vmcnt(0)
	v_mul_f64 v[13:14], v[10:11], v[2:3]
	v_fma_f64 v[17:18], v[15:16], v[2:3], v[8:9]
	v_fma_f64 v[2:3], v[15:16], v[2:3], -v[8:9]
	v_fma_f64 v[19:20], v[6:7], 0.5, v[13:14]
	v_fma_f64 v[13:14], v[6:7], 0.5, -v[13:14]
	v_fma_f64 v[8:9], -v[0:1], v[10:11], v[17:18]
	v_fma_f64 v[2:3], -v[0:1], v[10:11], v[2:3]
	v_fma_f64 v[6:7], v[15:16], v[0:1], v[19:20]
	v_fma_f64 v[0:1], -v[15:16], v[0:1], v[13:14]
	ds_write_b128 v137, v[6:9] offset:2112
	ds_write_b128 v12, v[0:3] offset:4224
	s_and_saveexec_b64 s[4:5], vcc
	s_cbranch_execz .LBB0_25
; %bb.24:
	global_load_dwordx4 v[0:3], v[4:5], off offset:2816
	ds_read_b128 v[4:7], v137 offset:2816
	ds_read_b128 v[8:11], v12 offset:3520
	s_waitcnt lgkmcnt(0)
	v_add_f64 v[13:14], v[4:5], -v[8:9]
	v_add_f64 v[15:16], v[6:7], v[10:11]
	v_add_f64 v[6:7], v[6:7], -v[10:11]
	v_add_f64 v[4:5], v[4:5], v[8:9]
	v_mul_f64 v[10:11], v[13:14], 0.5
	v_mul_f64 v[13:14], v[15:16], 0.5
	;; [unrolled: 1-line block ×3, first 2 shown]
	s_waitcnt vmcnt(0)
	v_mul_f64 v[8:9], v[10:11], v[2:3]
	v_fma_f64 v[15:16], v[13:14], v[2:3], v[6:7]
	v_fma_f64 v[2:3], v[13:14], v[2:3], -v[6:7]
	v_fma_f64 v[6:7], v[4:5], 0.5, v[8:9]
	v_fma_f64 v[17:18], v[4:5], 0.5, -v[8:9]
	v_fma_f64 v[4:5], -v[0:1], v[10:11], v[15:16]
	v_fma_f64 v[8:9], -v[0:1], v[10:11], v[2:3]
	v_fma_f64 v[2:3], v[13:14], v[0:1], v[6:7]
	v_fma_f64 v[6:7], -v[13:14], v[0:1], v[17:18]
	ds_write_b128 v137, v[2:5] offset:2816
	ds_write_b128 v12, v[6:9] offset:3520
.LBB0_25:
	s_or_b64 exec, exec, s[4:5]
	s_waitcnt lgkmcnt(0)
	; wave barrier
	s_waitcnt lgkmcnt(0)
	s_and_saveexec_b64 s[4:5], s[0:1]
	s_cbranch_execz .LBB0_28
; %bb.26:
	v_mul_lo_u32 v2, s3, v54
	v_mul_lo_u32 v3, s2, v55
	v_mad_u64_u32 v[0:1], s[0:1], s2, v54, 0
	v_mov_b32_e32 v6, s11
	v_lshl_add_u32 v12, v56, 4, 0
	v_add3_u32 v1, v1, v3, v2
	v_lshlrev_b64 v[0:1], 4, v[0:1]
	v_mov_b32_e32 v57, 0
	v_add_co_u32_e32 v0, vcc, s10, v0
	v_addc_co_u32_e32 v8, vcc, v6, v1, vcc
	v_lshlrev_b64 v[6:7], 4, v[52:53]
	ds_read_b128 v[2:5], v12
	v_add_co_u32_e32 v1, vcc, v0, v6
	v_addc_co_u32_e32 v0, vcc, v8, v7, vcc
	v_lshlrev_b64 v[6:7], 4, v[56:57]
	v_add_co_u32_e32 v10, vcc, v1, v6
	v_addc_co_u32_e32 v11, vcc, v0, v7, vcc
	ds_read_b128 v[6:9], v12 offset:704
	s_waitcnt lgkmcnt(1)
	global_store_dwordx4 v[10:11], v[2:5], off
	s_nop 0
	v_add_u32_e32 v2, 44, v56
	v_mov_b32_e32 v3, v57
	v_lshlrev_b64 v[2:3], 4, v[2:3]
	v_add_co_u32_e32 v2, vcc, v1, v2
	v_addc_co_u32_e32 v3, vcc, v0, v3, vcc
	s_waitcnt lgkmcnt(0)
	global_store_dwordx4 v[2:3], v[6:9], off
	ds_read_b128 v[2:5], v12 offset:1408
	v_add_u32_e32 v6, 0x58, v56
	v_mov_b32_e32 v7, v57
	v_lshlrev_b64 v[6:7], 4, v[6:7]
	v_add_co_u32_e32 v10, vcc, v1, v6
	v_addc_co_u32_e32 v11, vcc, v0, v7, vcc
	ds_read_b128 v[6:9], v12 offset:2112
	s_waitcnt lgkmcnt(1)
	global_store_dwordx4 v[10:11], v[2:5], off
	s_nop 0
	v_add_u32_e32 v2, 0x84, v56
	v_mov_b32_e32 v3, v57
	v_lshlrev_b64 v[2:3], 4, v[2:3]
	v_add_co_u32_e32 v2, vcc, v1, v2
	v_addc_co_u32_e32 v3, vcc, v0, v3, vcc
	s_waitcnt lgkmcnt(0)
	global_store_dwordx4 v[2:3], v[6:9], off
	ds_read_b128 v[2:5], v12 offset:2816
	v_add_u32_e32 v6, 0xb0, v56
	v_mov_b32_e32 v7, v57
	;; [unrolled: 17-line block ×4, first 2 shown]
	v_lshlrev_b64 v[6:7], 4, v[6:7]
	v_add_co_u32_e32 v6, vcc, v1, v6
	v_addc_co_u32_e32 v7, vcc, v0, v7, vcc
	v_cmp_eq_u32_e32 vcc, 43, v56
	s_waitcnt lgkmcnt(0)
	global_store_dwordx4 v[6:7], v[2:5], off
	s_and_b64 exec, exec, vcc
	s_cbranch_execz .LBB0_28
; %bb.27:
	ds_read_b128 v[2:5], v57 offset:6336
	v_add_co_u32_e32 v6, vcc, 0x1000, v1
	v_addc_co_u32_e32 v7, vcc, 0, v0, vcc
	s_waitcnt lgkmcnt(0)
	global_store_dwordx4 v[6:7], v[2:5], off offset:2240
.LBB0_28:
	s_endpgm
	.section	.rodata,"a",@progbits
	.p2align	6, 0x0
	.amdhsa_kernel fft_rtc_fwd_len396_factors_11_9_4_wgs_44_tpt_44_dp_op_CI_CI_unitstride_sbrr_R2C_dirReg
		.amdhsa_group_segment_fixed_size 0
		.amdhsa_private_segment_fixed_size 0
		.amdhsa_kernarg_size 104
		.amdhsa_user_sgpr_count 6
		.amdhsa_user_sgpr_private_segment_buffer 1
		.amdhsa_user_sgpr_dispatch_ptr 0
		.amdhsa_user_sgpr_queue_ptr 0
		.amdhsa_user_sgpr_kernarg_segment_ptr 1
		.amdhsa_user_sgpr_dispatch_id 0
		.amdhsa_user_sgpr_flat_scratch_init 0
		.amdhsa_user_sgpr_private_segment_size 0
		.amdhsa_uses_dynamic_stack 0
		.amdhsa_system_sgpr_private_segment_wavefront_offset 0
		.amdhsa_system_sgpr_workgroup_id_x 1
		.amdhsa_system_sgpr_workgroup_id_y 0
		.amdhsa_system_sgpr_workgroup_id_z 0
		.amdhsa_system_sgpr_workgroup_info 0
		.amdhsa_system_vgpr_workitem_id 0
		.amdhsa_next_free_vgpr 222
		.amdhsa_next_free_sgpr 42
		.amdhsa_reserve_vcc 1
		.amdhsa_reserve_flat_scratch 0
		.amdhsa_float_round_mode_32 0
		.amdhsa_float_round_mode_16_64 0
		.amdhsa_float_denorm_mode_32 3
		.amdhsa_float_denorm_mode_16_64 3
		.amdhsa_dx10_clamp 1
		.amdhsa_ieee_mode 1
		.amdhsa_fp16_overflow 0
		.amdhsa_exception_fp_ieee_invalid_op 0
		.amdhsa_exception_fp_denorm_src 0
		.amdhsa_exception_fp_ieee_div_zero 0
		.amdhsa_exception_fp_ieee_overflow 0
		.amdhsa_exception_fp_ieee_underflow 0
		.amdhsa_exception_fp_ieee_inexact 0
		.amdhsa_exception_int_div_zero 0
	.end_amdhsa_kernel
	.text
.Lfunc_end0:
	.size	fft_rtc_fwd_len396_factors_11_9_4_wgs_44_tpt_44_dp_op_CI_CI_unitstride_sbrr_R2C_dirReg, .Lfunc_end0-fft_rtc_fwd_len396_factors_11_9_4_wgs_44_tpt_44_dp_op_CI_CI_unitstride_sbrr_R2C_dirReg
                                        ; -- End function
	.section	.AMDGPU.csdata,"",@progbits
; Kernel info:
; codeLenInByte = 8712
; NumSgprs: 46
; NumVgprs: 222
; ScratchSize: 0
; MemoryBound: 0
; FloatMode: 240
; IeeeMode: 1
; LDSByteSize: 0 bytes/workgroup (compile time only)
; SGPRBlocks: 5
; VGPRBlocks: 55
; NumSGPRsForWavesPerEU: 46
; NumVGPRsForWavesPerEU: 222
; Occupancy: 1
; WaveLimiterHint : 1
; COMPUTE_PGM_RSRC2:SCRATCH_EN: 0
; COMPUTE_PGM_RSRC2:USER_SGPR: 6
; COMPUTE_PGM_RSRC2:TRAP_HANDLER: 0
; COMPUTE_PGM_RSRC2:TGID_X_EN: 1
; COMPUTE_PGM_RSRC2:TGID_Y_EN: 0
; COMPUTE_PGM_RSRC2:TGID_Z_EN: 0
; COMPUTE_PGM_RSRC2:TIDIG_COMP_CNT: 0
	.type	__hip_cuid_c9a17106ee126ef3,@object ; @__hip_cuid_c9a17106ee126ef3
	.section	.bss,"aw",@nobits
	.globl	__hip_cuid_c9a17106ee126ef3
__hip_cuid_c9a17106ee126ef3:
	.byte	0                               ; 0x0
	.size	__hip_cuid_c9a17106ee126ef3, 1

	.ident	"AMD clang version 19.0.0git (https://github.com/RadeonOpenCompute/llvm-project roc-6.4.0 25133 c7fe45cf4b819c5991fe208aaa96edf142730f1d)"
	.section	".note.GNU-stack","",@progbits
	.addrsig
	.addrsig_sym __hip_cuid_c9a17106ee126ef3
	.amdgpu_metadata
---
amdhsa.kernels:
  - .args:
      - .actual_access:  read_only
        .address_space:  global
        .offset:         0
        .size:           8
        .value_kind:     global_buffer
      - .offset:         8
        .size:           8
        .value_kind:     by_value
      - .actual_access:  read_only
        .address_space:  global
        .offset:         16
        .size:           8
        .value_kind:     global_buffer
      - .actual_access:  read_only
        .address_space:  global
        .offset:         24
        .size:           8
        .value_kind:     global_buffer
      - .actual_access:  read_only
        .address_space:  global
        .offset:         32
        .size:           8
        .value_kind:     global_buffer
      - .offset:         40
        .size:           8
        .value_kind:     by_value
      - .actual_access:  read_only
        .address_space:  global
        .offset:         48
        .size:           8
        .value_kind:     global_buffer
      - .actual_access:  read_only
        .address_space:  global
        .offset:         56
        .size:           8
        .value_kind:     global_buffer
      - .offset:         64
        .size:           4
        .value_kind:     by_value
      - .actual_access:  read_only
        .address_space:  global
        .offset:         72
        .size:           8
        .value_kind:     global_buffer
      - .actual_access:  read_only
        .address_space:  global
        .offset:         80
        .size:           8
        .value_kind:     global_buffer
      - .actual_access:  read_only
        .address_space:  global
        .offset:         88
        .size:           8
        .value_kind:     global_buffer
      - .actual_access:  write_only
        .address_space:  global
        .offset:         96
        .size:           8
        .value_kind:     global_buffer
    .group_segment_fixed_size: 0
    .kernarg_segment_align: 8
    .kernarg_segment_size: 104
    .language:       OpenCL C
    .language_version:
      - 2
      - 0
    .max_flat_workgroup_size: 44
    .name:           fft_rtc_fwd_len396_factors_11_9_4_wgs_44_tpt_44_dp_op_CI_CI_unitstride_sbrr_R2C_dirReg
    .private_segment_fixed_size: 0
    .sgpr_count:     46
    .sgpr_spill_count: 0
    .symbol:         fft_rtc_fwd_len396_factors_11_9_4_wgs_44_tpt_44_dp_op_CI_CI_unitstride_sbrr_R2C_dirReg.kd
    .uniform_work_group_size: 1
    .uses_dynamic_stack: false
    .vgpr_count:     222
    .vgpr_spill_count: 0
    .wavefront_size: 64
amdhsa.target:   amdgcn-amd-amdhsa--gfx906
amdhsa.version:
  - 1
  - 2
...

	.end_amdgpu_metadata
